;; amdgpu-corpus repo=ROCm/rocFFT kind=compiled arch=gfx906 opt=O3
	.text
	.amdgcn_target "amdgcn-amd-amdhsa--gfx906"
	.amdhsa_code_object_version 6
	.protected	fft_rtc_back_len306_factors_17_2_9_wgs_238_tpt_34_halfLds_sp_ip_CI_unitstride_sbrr_R2C_dirReg ; -- Begin function fft_rtc_back_len306_factors_17_2_9_wgs_238_tpt_34_halfLds_sp_ip_CI_unitstride_sbrr_R2C_dirReg
	.globl	fft_rtc_back_len306_factors_17_2_9_wgs_238_tpt_34_halfLds_sp_ip_CI_unitstride_sbrr_R2C_dirReg
	.p2align	8
	.type	fft_rtc_back_len306_factors_17_2_9_wgs_238_tpt_34_halfLds_sp_ip_CI_unitstride_sbrr_R2C_dirReg,@function
fft_rtc_back_len306_factors_17_2_9_wgs_238_tpt_34_halfLds_sp_ip_CI_unitstride_sbrr_R2C_dirReg: ; @fft_rtc_back_len306_factors_17_2_9_wgs_238_tpt_34_halfLds_sp_ip_CI_unitstride_sbrr_R2C_dirReg
; %bb.0:
	s_load_dwordx2 s[12:13], s[4:5], 0x50
	s_load_dwordx4 s[8:11], s[4:5], 0x0
	s_load_dwordx2 s[2:3], s[4:5], 0x18
	v_mul_u32_u24_e32 v1, 0x788, v0
	v_lshrrev_b32_e32 v1, 16, v1
	v_mad_u64_u32 v[1:2], s[0:1], s6, 7, v[1:2]
	v_mov_b32_e32 v5, 0
	s_waitcnt lgkmcnt(0)
	v_cmp_lt_u64_e64 s[0:1], s[10:11], 2
	v_mov_b32_e32 v2, v5
	v_mov_b32_e32 v3, 0
	;; [unrolled: 1-line block ×3, first 2 shown]
	s_and_b64 vcc, exec, s[0:1]
	v_mov_b32_e32 v4, 0
	v_mov_b32_e32 v9, v1
	s_cbranch_vccnz .LBB0_8
; %bb.1:
	s_load_dwordx2 s[0:1], s[4:5], 0x10
	s_add_u32 s6, s2, 8
	s_addc_u32 s7, s3, 0
	v_mov_b32_e32 v3, 0
	v_mov_b32_e32 v8, v2
	s_waitcnt lgkmcnt(0)
	s_add_u32 s16, s0, 8
	s_mov_b64 s[14:15], 1
	v_mov_b32_e32 v4, 0
	s_addc_u32 s17, s1, 0
	v_mov_b32_e32 v7, v1
.LBB0_2:                                ; =>This Inner Loop Header: Depth=1
	s_load_dwordx2 s[18:19], s[16:17], 0x0
                                        ; implicit-def: $vgpr9_vgpr10
	s_waitcnt lgkmcnt(0)
	v_or_b32_e32 v6, s19, v8
	v_cmp_ne_u64_e32 vcc, 0, v[5:6]
	s_and_saveexec_b64 s[0:1], vcc
	s_xor_b64 s[20:21], exec, s[0:1]
	s_cbranch_execz .LBB0_4
; %bb.3:                                ;   in Loop: Header=BB0_2 Depth=1
	v_cvt_f32_u32_e32 v2, s18
	v_cvt_f32_u32_e32 v6, s19
	s_sub_u32 s0, 0, s18
	s_subb_u32 s1, 0, s19
	v_mac_f32_e32 v2, 0x4f800000, v6
	v_rcp_f32_e32 v2, v2
	v_mul_f32_e32 v2, 0x5f7ffffc, v2
	v_mul_f32_e32 v6, 0x2f800000, v2
	v_trunc_f32_e32 v6, v6
	v_mac_f32_e32 v2, 0xcf800000, v6
	v_cvt_u32_f32_e32 v6, v6
	v_cvt_u32_f32_e32 v2, v2
	v_mul_lo_u32 v9, s0, v6
	v_mul_hi_u32 v10, s0, v2
	v_mul_lo_u32 v12, s1, v2
	v_mul_lo_u32 v11, s0, v2
	v_add_u32_e32 v9, v10, v9
	v_add_u32_e32 v9, v9, v12
	v_mul_hi_u32 v10, v2, v11
	v_mul_lo_u32 v12, v2, v9
	v_mul_hi_u32 v14, v2, v9
	v_mul_hi_u32 v13, v6, v11
	v_mul_lo_u32 v11, v6, v11
	v_mul_hi_u32 v15, v6, v9
	v_add_co_u32_e32 v10, vcc, v10, v12
	v_addc_co_u32_e32 v12, vcc, 0, v14, vcc
	v_mul_lo_u32 v9, v6, v9
	v_add_co_u32_e32 v10, vcc, v10, v11
	v_addc_co_u32_e32 v10, vcc, v12, v13, vcc
	v_addc_co_u32_e32 v11, vcc, 0, v15, vcc
	v_add_co_u32_e32 v9, vcc, v10, v9
	v_addc_co_u32_e32 v10, vcc, 0, v11, vcc
	v_add_co_u32_e32 v2, vcc, v2, v9
	v_addc_co_u32_e32 v6, vcc, v6, v10, vcc
	v_mul_lo_u32 v9, s0, v6
	v_mul_hi_u32 v10, s0, v2
	v_mul_lo_u32 v11, s1, v2
	v_mul_lo_u32 v12, s0, v2
	v_add_u32_e32 v9, v10, v9
	v_add_u32_e32 v9, v9, v11
	v_mul_lo_u32 v13, v2, v9
	v_mul_hi_u32 v14, v2, v12
	v_mul_hi_u32 v15, v2, v9
	;; [unrolled: 1-line block ×3, first 2 shown]
	v_mul_lo_u32 v12, v6, v12
	v_mul_hi_u32 v10, v6, v9
	v_add_co_u32_e32 v13, vcc, v14, v13
	v_addc_co_u32_e32 v14, vcc, 0, v15, vcc
	v_mul_lo_u32 v9, v6, v9
	v_add_co_u32_e32 v12, vcc, v13, v12
	v_addc_co_u32_e32 v11, vcc, v14, v11, vcc
	v_addc_co_u32_e32 v10, vcc, 0, v10, vcc
	v_add_co_u32_e32 v9, vcc, v11, v9
	v_addc_co_u32_e32 v10, vcc, 0, v10, vcc
	v_add_co_u32_e32 v2, vcc, v2, v9
	v_addc_co_u32_e32 v6, vcc, v6, v10, vcc
	v_mad_u64_u32 v[9:10], s[0:1], v7, v6, 0
	v_mul_hi_u32 v11, v7, v2
	v_add_co_u32_e32 v13, vcc, v11, v9
	v_addc_co_u32_e32 v14, vcc, 0, v10, vcc
	v_mad_u64_u32 v[9:10], s[0:1], v8, v2, 0
	v_mad_u64_u32 v[11:12], s[0:1], v8, v6, 0
	v_add_co_u32_e32 v2, vcc, v13, v9
	v_addc_co_u32_e32 v2, vcc, v14, v10, vcc
	v_addc_co_u32_e32 v6, vcc, 0, v12, vcc
	v_add_co_u32_e32 v2, vcc, v2, v11
	v_addc_co_u32_e32 v6, vcc, 0, v6, vcc
	v_mul_lo_u32 v11, s19, v2
	v_mul_lo_u32 v12, s18, v6
	v_mad_u64_u32 v[9:10], s[0:1], s18, v2, 0
	v_add3_u32 v10, v10, v12, v11
	v_sub_u32_e32 v11, v8, v10
	v_mov_b32_e32 v12, s19
	v_sub_co_u32_e32 v9, vcc, v7, v9
	v_subb_co_u32_e64 v11, s[0:1], v11, v12, vcc
	v_subrev_co_u32_e64 v12, s[0:1], s18, v9
	v_subbrev_co_u32_e64 v11, s[0:1], 0, v11, s[0:1]
	v_cmp_le_u32_e64 s[0:1], s19, v11
	v_cndmask_b32_e64 v13, 0, -1, s[0:1]
	v_cmp_le_u32_e64 s[0:1], s18, v12
	v_cndmask_b32_e64 v12, 0, -1, s[0:1]
	v_cmp_eq_u32_e64 s[0:1], s19, v11
	v_cndmask_b32_e64 v11, v13, v12, s[0:1]
	v_add_co_u32_e64 v12, s[0:1], 2, v2
	v_addc_co_u32_e64 v13, s[0:1], 0, v6, s[0:1]
	v_add_co_u32_e64 v14, s[0:1], 1, v2
	v_addc_co_u32_e64 v15, s[0:1], 0, v6, s[0:1]
	v_subb_co_u32_e32 v10, vcc, v8, v10, vcc
	v_cmp_ne_u32_e64 s[0:1], 0, v11
	v_cmp_le_u32_e32 vcc, s19, v10
	v_cndmask_b32_e64 v11, v15, v13, s[0:1]
	v_cndmask_b32_e64 v13, 0, -1, vcc
	v_cmp_le_u32_e32 vcc, s18, v9
	v_cndmask_b32_e64 v9, 0, -1, vcc
	v_cmp_eq_u32_e32 vcc, s19, v10
	v_cndmask_b32_e32 v9, v13, v9, vcc
	v_cmp_ne_u32_e32 vcc, 0, v9
	v_cndmask_b32_e32 v10, v6, v11, vcc
	v_cndmask_b32_e64 v6, v14, v12, s[0:1]
	v_cndmask_b32_e32 v9, v2, v6, vcc
.LBB0_4:                                ;   in Loop: Header=BB0_2 Depth=1
	s_andn2_saveexec_b64 s[0:1], s[20:21]
	s_cbranch_execz .LBB0_6
; %bb.5:                                ;   in Loop: Header=BB0_2 Depth=1
	v_cvt_f32_u32_e32 v2, s18
	s_sub_i32 s20, 0, s18
	v_rcp_iflag_f32_e32 v2, v2
	v_mul_f32_e32 v2, 0x4f7ffffe, v2
	v_cvt_u32_f32_e32 v2, v2
	v_mul_lo_u32 v6, s20, v2
	v_mul_hi_u32 v6, v2, v6
	v_add_u32_e32 v2, v2, v6
	v_mul_hi_u32 v2, v7, v2
	v_mul_lo_u32 v6, v2, s18
	v_add_u32_e32 v9, 1, v2
	v_sub_u32_e32 v6, v7, v6
	v_subrev_u32_e32 v10, s18, v6
	v_cmp_le_u32_e32 vcc, s18, v6
	v_cndmask_b32_e32 v6, v6, v10, vcc
	v_cndmask_b32_e32 v2, v2, v9, vcc
	v_add_u32_e32 v9, 1, v2
	v_cmp_le_u32_e32 vcc, s18, v6
	v_cndmask_b32_e32 v9, v2, v9, vcc
	v_mov_b32_e32 v10, v5
.LBB0_6:                                ;   in Loop: Header=BB0_2 Depth=1
	s_or_b64 exec, exec, s[0:1]
	v_mul_lo_u32 v2, v10, s18
	v_mul_lo_u32 v6, v9, s19
	v_mad_u64_u32 v[11:12], s[0:1], v9, s18, 0
	s_load_dwordx2 s[0:1], s[6:7], 0x0
	s_add_u32 s14, s14, 1
	v_add3_u32 v2, v12, v6, v2
	v_sub_co_u32_e32 v6, vcc, v7, v11
	v_subb_co_u32_e32 v2, vcc, v8, v2, vcc
	s_waitcnt lgkmcnt(0)
	v_mul_lo_u32 v2, s0, v2
	v_mul_lo_u32 v7, s1, v6
	v_mad_u64_u32 v[3:4], s[0:1], s0, v6, v[3:4]
	s_addc_u32 s15, s15, 0
	s_add_u32 s6, s6, 8
	v_add3_u32 v4, v7, v4, v2
	v_mov_b32_e32 v6, s10
	v_mov_b32_e32 v7, s11
	s_addc_u32 s7, s7, 0
	v_cmp_ge_u64_e32 vcc, s[14:15], v[6:7]
	s_add_u32 s16, s16, 8
	s_addc_u32 s17, s17, 0
	s_cbranch_vccnz .LBB0_8
; %bb.7:                                ;   in Loop: Header=BB0_2 Depth=1
	v_mov_b32_e32 v7, v9
	v_mov_b32_e32 v8, v10
	s_branch .LBB0_2
.LBB0_8:
	s_lshl_b64 s[0:1], s[10:11], 3
	s_add_u32 s0, s2, s0
	s_addc_u32 s1, s3, s1
	s_load_dwordx2 s[2:3], s[0:1], 0x0
	s_load_dwordx2 s[6:7], s[4:5], 0x20
	s_mov_b32 s0, 0x24924925
	v_mul_hi_u32 v5, v1, s0
	s_waitcnt lgkmcnt(0)
	v_mad_u64_u32 v[2:3], s[0:1], s2, v9, v[3:4]
	v_sub_u32_e32 v4, v1, v5
	v_lshrrev_b32_e32 v4, 1, v4
	v_add_u32_e32 v4, v4, v5
	v_lshrrev_b32_e32 v4, 2, v4
	s_mov_b32 s0, 0x7878788
	v_mul_lo_u32 v6, s2, v10
	v_mul_lo_u32 v7, s3, v9
	;; [unrolled: 1-line block ×3, first 2 shown]
	v_mul_hi_u32 v5, v0, s0
	v_cmp_gt_u64_e32 vcc, s[6:7], v[9:10]
	v_add3_u32 v3, v7, v3, v6
	v_sub_u32_e32 v1, v1, v4
	v_mul_u32_u24_e32 v4, 34, v5
	v_mul_u32_u24_e32 v1, 0x133, v1
	v_sub_u32_e32 v36, v0, v4
	v_lshlrev_b64 v[38:39], 3, v[2:3]
	v_lshlrev_b32_e32 v45, 3, v1
	v_lshlrev_b32_e32 v40, 3, v36
	s_and_saveexec_b64 s[2:3], vcc
	s_cbranch_execz .LBB0_10
; %bb.9:
	v_mov_b32_e32 v37, 0
	v_mov_b32_e32 v0, s13
	v_add_co_u32_e64 v2, s[0:1], s12, v38
	v_addc_co_u32_e64 v3, s[0:1], v0, v39, s[0:1]
	v_lshlrev_b64 v[0:1], 3, v[36:37]
	v_add_co_u32_e64 v0, s[0:1], v2, v0
	v_addc_co_u32_e64 v1, s[0:1], v3, v1, s[0:1]
	global_load_dwordx2 v[2:3], v[0:1], off
	global_load_dwordx2 v[4:5], v[0:1], off offset:272
	global_load_dwordx2 v[6:7], v[0:1], off offset:544
	global_load_dwordx2 v[8:9], v[0:1], off offset:816
	global_load_dwordx2 v[10:11], v[0:1], off offset:1088
	global_load_dwordx2 v[12:13], v[0:1], off offset:1360
	global_load_dwordx2 v[14:15], v[0:1], off offset:1632
	global_load_dwordx2 v[16:17], v[0:1], off offset:1904
	global_load_dwordx2 v[18:19], v[0:1], off offset:2176
	v_add3_u32 v0, 0, v45, v40
	s_waitcnt vmcnt(7)
	ds_write2_b64 v0, v[2:3], v[4:5] offset1:34
	s_waitcnt vmcnt(5)
	ds_write2_b64 v0, v[6:7], v[8:9] offset0:68 offset1:102
	s_waitcnt vmcnt(3)
	ds_write2_b64 v0, v[10:11], v[12:13] offset0:136 offset1:170
	;; [unrolled: 2-line block ×3, first 2 shown]
	s_waitcnt vmcnt(0)
	ds_write_b64 v0, v[18:19] offset:2176
.LBB0_10:
	s_or_b64 exec, exec, s[2:3]
	v_add_u32_e32 v37, 0, v45
	v_add_u32_e32 v43, v37, v40
	v_add3_u32 v44, 0, v40, v45
	s_waitcnt lgkmcnt(0)
	s_barrier
	ds_read_b64 v[41:42], v43
	ds_read2_b64 v[32:35], v44 offset0:18 offset1:36
	ds_read2_b64 v[28:31], v44 offset0:54 offset1:72
	;; [unrolled: 1-line block ×3, first 2 shown]
	v_add_u32_e32 v0, 0x800, v44
	ds_read2_b64 v[4:7], v0 offset0:14 offset1:32
	ds_read2_b64 v[24:27], v44 offset0:126 offset1:144
	;; [unrolled: 1-line block ×5, first 2 shown]
	s_waitcnt lgkmcnt(4)
	v_sub_f32_e32 v62, v33, v7
	v_mul_f32_e32 v0, 0xbe3c28d5, v62
	v_sub_f32_e32 v64, v35, v5
	v_add_f32_e32 v46, v6, v32
	v_mov_b32_e32 v1, v0
	v_mul_f32_e32 v50, 0x3eb8f4ab, v64
	v_add_f32_e32 v63, v7, v33
	v_fmac_f32_e32 v1, 0xbf7ba420, v46
	v_add_f32_e32 v48, v4, v34
	v_mov_b32_e32 v51, v50
	v_add_f32_e32 v1, v41, v1
	v_mul_f32_e32 v2, 0xbf7ba420, v63
	v_add_f32_e32 v65, v5, v35
	v_fmac_f32_e32 v51, 0x3f6eb680, v48
	v_sub_f32_e32 v47, v32, v6
	v_mov_b32_e32 v3, v2
	v_add_f32_e32 v1, v51, v1
	v_mul_f32_e32 v51, 0x3f6eb680, v65
	s_mov_b32 s4, 0xbf7ba420
	v_fmac_f32_e32 v3, 0x3e3c28d5, v47
	v_sub_f32_e32 v49, v34, v4
	v_mov_b32_e32 v52, v51
	v_add_f32_e32 v3, v42, v3
	v_fma_f32 v0, v46, s4, -v0
	s_mov_b32 s5, 0x3f6eb680
	v_fmac_f32_e32 v52, 0xbeb8f4ab, v49
	s_waitcnt lgkmcnt(0)
	v_sub_f32_e32 v66, v29, v11
	v_add_f32_e32 v0, v41, v0
	v_add_f32_e32 v3, v52, v3
	v_fma_f32 v50, v48, s5, -v50
	v_mul_f32_e32 v52, 0xbf06c442, v66
	v_add_f32_e32 v0, v50, v0
	v_add_f32_e32 v50, v10, v28
	v_mov_b32_e32 v53, v52
	v_fmac_f32_e32 v2, 0xbe3c28d5, v47
	v_add_f32_e32 v68, v11, v29
	v_fmac_f32_e32 v53, 0xbf59a7d5, v50
	v_add_f32_e32 v2, v42, v2
	;; [unrolled: 2-line block ×3, first 2 shown]
	v_mul_f32_e32 v53, 0xbf59a7d5, v68
	v_add_f32_e32 v2, v51, v2
	v_sub_f32_e32 v51, v28, v10
	v_mov_b32_e32 v54, v53
	s_mov_b32 s6, 0xbf59a7d5
	v_fmac_f32_e32 v54, 0x3f06c442, v51
	v_sub_f32_e32 v67, v31, v9
	v_add_f32_e32 v3, v54, v3
	v_fma_f32 v52, v50, s6, -v52
	v_mul_f32_e32 v54, 0x3f2c7751, v67
	v_add_f32_e32 v0, v52, v0
	v_add_f32_e32 v52, v8, v30
	v_mov_b32_e32 v55, v54
	v_add_f32_e32 v69, v9, v31
	v_fmac_f32_e32 v55, 0x3f3d2fb0, v52
	v_fmac_f32_e32 v53, 0xbf06c442, v51
	v_add_f32_e32 v1, v55, v1
	v_mul_f32_e32 v55, 0x3f3d2fb0, v69
	v_add_f32_e32 v2, v53, v2
	v_sub_f32_e32 v53, v30, v8
	v_mov_b32_e32 v56, v55
	s_mov_b32 s7, 0x3f3d2fb0
	v_fmac_f32_e32 v56, 0xbf2c7751, v53
	v_sub_f32_e32 v70, v21, v15
	v_add_f32_e32 v3, v56, v3
	v_fma_f32 v54, v52, s7, -v54
	v_mul_f32_e32 v56, 0xbf4c4adb, v70
	v_add_f32_e32 v0, v54, v0
	v_add_f32_e32 v54, v14, v20
	v_mov_b32_e32 v57, v56
	v_add_f32_e32 v72, v15, v21
	v_fmac_f32_e32 v57, 0xbf1a4643, v54
	v_fmac_f32_e32 v55, 0x3f2c7751, v53
	v_add_f32_e32 v1, v57, v1
	;; [unrolled: 17-line block ×3, first 2 shown]
	v_mul_f32_e32 v59, 0x3ee437d1, v73
	v_add_f32_e32 v2, v57, v2
	v_sub_f32_e32 v57, v22, v12
	v_mov_b32_e32 v60, v59
	s_mov_b32 s11, 0x3ee437d1
	v_fmac_f32_e32 v60, 0xbf65296c, v57
	v_sub_f32_e32 v74, v25, v19
	v_add_f32_e32 v3, v60, v3
	v_fma_f32 v58, v56, s11, -v58
	v_mul_f32_e32 v60, 0xbf763a35, v74
	v_add_f32_e32 v0, v58, v0
	v_add_f32_e32 v58, v18, v24
	v_mov_b32_e32 v61, v60
	v_fmac_f32_e32 v59, 0x3f65296c, v57
	v_add_f32_e32 v77, v19, v25
	v_fmac_f32_e32 v61, 0xbe8c1d8e, v58
	v_add_f32_e32 v2, v59, v2
	v_sub_f32_e32 v59, v24, v18
	v_add_f32_e32 v1, v61, v1
	v_mul_f32_e32 v61, 0xbe8c1d8e, v77
	s_mov_b32 s14, 0xbe8c1d8e
	v_mov_b32_e32 v75, v61
	v_fmac_f32_e32 v61, 0xbf763a35, v59
	v_sub_f32_e32 v76, v27, v17
	v_fmac_f32_e32 v75, 0x3f763a35, v59
	v_fma_f32 v60, v58, s14, -v60
	v_add_f32_e32 v79, v61, v2
	v_mul_f32_e32 v2, 0x3f7ee86f, v76
	v_add_f32_e32 v3, v75, v3
	v_add_f32_e32 v78, v60, v0
	;; [unrolled: 1-line block ×4, first 2 shown]
	v_mov_b32_e32 v0, v2
	v_fmac_f32_e32 v0, 0x3dbcf732, v60
	v_mul_f32_e32 v80, 0x3dbcf732, v75
	v_sub_f32_e32 v61, v26, v16
	s_mov_b32 s15, 0x3dbcf732
	v_add_f32_e32 v0, v0, v1
	v_mov_b32_e32 v1, v80
	v_fmac_f32_e32 v1, 0xbf7ee86f, v61
	v_fma_f32 v2, v60, s15, -v2
	v_fmac_f32_e32 v80, 0x3f7ee86f, v61
	v_add_f32_e32 v1, v1, v3
	v_add_f32_e32 v2, v2, v78
	;; [unrolled: 1-line block ×3, first 2 shown]
	v_cmp_gt_u32_e64 s[0:1], 18, v36
	s_barrier
	s_and_saveexec_b64 s[2:3], s[0:1]
	s_cbranch_execz .LBB0_12
; %bb.11:
	v_add_f32_e32 v32, v41, v32
	v_add_f32_e32 v33, v42, v33
	;; [unrolled: 1-line block ×24, first 2 shown]
	v_mul_f32_e32 v88, 0xbf4c4adb, v62
	v_add_f32_e32 v8, v14, v8
	v_add_f32_e32 v9, v13, v9
	;; [unrolled: 1-line block ×3, first 2 shown]
	v_mov_b32_e32 v10, v88
	v_mul_f32_e32 v89, 0x3f763a35, v64
	v_add_f32_e32 v9, v9, v11
	v_fmac_f32_e32 v10, 0xbf1a4643, v46
	v_mov_b32_e32 v11, v89
	v_add_f32_e32 v10, v41, v10
	v_fmac_f32_e32 v11, 0xbe8c1d8e, v48
	v_mul_f32_e32 v90, 0xbeb8f4ab, v66
	v_add_f32_e32 v10, v11, v10
	v_mov_b32_e32 v11, v90
	v_add_f32_e32 v4, v8, v4
	v_mul_f32_e32 v91, 0xbf06c442, v67
	v_fmac_f32_e32 v11, 0x3f6eb680, v50
	v_add_f32_e32 v4, v4, v6
	v_mov_b32_e32 v6, v91
	v_add_f32_e32 v10, v11, v10
	v_fmac_f32_e32 v6, 0xbf59a7d5, v52
	v_add_f32_e32 v5, v9, v5
	v_add_f32_e32 v6, v6, v10
	v_mul_f32_e32 v10, 0x3f7ee86f, v70
	v_add_f32_e32 v5, v5, v7
	v_mov_b32_e32 v7, v10
	v_fmac_f32_e32 v7, 0x3dbcf732, v54
	v_mul_f32_e32 v92, 0xbf2c7751, v71
	v_add_f32_e32 v6, v7, v6
	v_mov_b32_e32 v7, v92
	v_fmac_f32_e32 v7, 0x3f3d2fb0, v56
	;; [unrolled: 4-line block ×4, first 2 shown]
	v_mul_f32_e32 v95, 0xbe8c1d8e, v63
	v_add_f32_e32 v11, v7, v6
	v_mov_b32_e32 v6, v95
	v_mul_f32_e32 v96, 0xbf59a7d5, v65
	v_fmac_f32_e32 v6, 0x3f763a35, v47
	v_mov_b32_e32 v7, v96
	v_add_f32_e32 v6, v42, v6
	v_fmac_f32_e32 v7, 0xbf06c442, v49
	v_mul_f32_e32 v97, 0x3f3d2fb0, v68
	v_add_f32_e32 v6, v7, v6
	v_mov_b32_e32 v7, v97
	v_fmac_f32_e32 v7, 0xbf2c7751, v51
	v_mul_f32_e32 v98, 0x3ee437d1, v69
	v_add_f32_e32 v6, v7, v6
	v_mov_b32_e32 v7, v98
	;; [unrolled: 4-line block ×6, first 2 shown]
	v_mul_f32_e32 v103, 0x3f06c442, v64
	v_fmac_f32_e32 v7, 0xbe8c1d8e, v46
	v_mov_b32_e32 v8, v103
	v_add_f32_e32 v7, v41, v7
	v_fmac_f32_e32 v8, 0xbf59a7d5, v48
	v_mul_f32_e32 v104, 0x3f2c7751, v66
	v_add_f32_e32 v7, v8, v7
	v_mov_b32_e32 v8, v104
	v_fmac_f32_e32 v8, 0x3f3d2fb0, v50
	v_mul_f32_e32 v105, 0xbf65296c, v67
	v_add_f32_e32 v7, v8, v7
	v_mov_b32_e32 v8, v105
	;; [unrolled: 4-line block ×7, first 2 shown]
	v_mul_f32_e32 v78, 0xbf59a7d5, v63
	v_fmac_f32_e32 v6, 0xbf1a4643, v60
	v_mul_f32_e32 v111, 0x3dbcf732, v63
	v_mov_b32_e32 v79, v78
	v_add_f32_e32 v6, v6, v8
	v_mov_b32_e32 v8, v111
	v_mul_f32_e32 v112, 0xbf7ba420, v65
	v_fmac_f32_e32 v79, 0x3f06c442, v47
	v_fmac_f32_e32 v8, 0x3f7ee86f, v47
	v_mov_b32_e32 v9, v112
	v_add_f32_e32 v80, v42, v79
	v_mul_f32_e32 v79, 0x3ee437d1, v65
	v_add_f32_e32 v8, v42, v8
	v_fmac_f32_e32 v9, 0x3e3c28d5, v49
	v_mul_f32_e32 v113, 0xbe8c1d8e, v68
	v_mov_b32_e32 v81, v79
	v_add_f32_e32 v8, v9, v8
	v_mov_b32_e32 v9, v113
	v_fmac_f32_e32 v81, 0xbf65296c, v49
	v_fmac_f32_e32 v9, 0xbf763a35, v51
	v_mul_f32_e32 v114, 0x3f6eb680, v69
	v_add_f32_e32 v81, v81, v80
	v_mul_f32_e32 v80, 0x3dbcf732, v68
	v_add_f32_e32 v8, v9, v8
	v_mov_b32_e32 v9, v114
	v_mov_b32_e32 v82, v80
	v_fmac_f32_e32 v9, 0xbeb8f4ab, v53
	v_mul_f32_e32 v115, 0x3ee437d1, v72
	v_fmac_f32_e32 v82, 0x3f7ee86f, v51
	v_add_f32_e32 v8, v9, v8
	v_mov_b32_e32 v9, v115
	v_add_f32_e32 v82, v82, v81
	v_mul_f32_e32 v81, 0xbf1a4643, v69
	v_fmac_f32_e32 v9, 0x3f65296c, v55
	v_mul_f32_e32 v116, 0xbf59a7d5, v73
	v_mov_b32_e32 v83, v81
	v_mul_f32_e32 v34, 0x3f6eb680, v72
	v_add_f32_e32 v8, v9, v8
	v_mov_b32_e32 v9, v116
	v_fmac_f32_e32 v83, 0xbf4c4adb, v53
	v_mov_b32_e32 v35, v34
	v_fmac_f32_e32 v9, 0x3f06c442, v57
	v_mul_f32_e32 v117, 0xbf1a4643, v77
	v_add_f32_e32 v82, v83, v82
	v_fmac_f32_e32 v35, 0x3eb8f4ab, v55
	v_add_f32_e32 v8, v9, v8
	v_mov_b32_e32 v9, v117
	v_add_f32_e32 v35, v35, v82
	v_mul_f32_e32 v82, 0xbf7ba420, v73
	v_fmac_f32_e32 v9, 0xbf4c4adb, v59
	v_mul_f32_e32 v118, 0xbf7ee86f, v62
	v_mov_b32_e32 v83, v82
	v_add_f32_e32 v8, v9, v8
	v_mov_b32_e32 v9, v118
	v_mul_f32_e32 v119, 0xbe3c28d5, v64
	v_fmac_f32_e32 v83, 0x3e3c28d5, v57
	v_fmac_f32_e32 v9, 0x3dbcf732, v46
	v_mov_b32_e32 v13, v119
	v_add_f32_e32 v35, v83, v35
	v_mul_f32_e32 v83, 0x3f3d2fb0, v77
	v_add_f32_e32 v9, v41, v9
	v_fmac_f32_e32 v13, 0xbf7ba420, v48
	v_mul_f32_e32 v120, 0x3f763a35, v66
	v_mov_b32_e32 v84, v83
	v_add_f32_e32 v9, v13, v9
	v_mov_b32_e32 v13, v120
	v_fmac_f32_e32 v84, 0xbf2c7751, v59
	v_fmac_f32_e32 v13, 0xbe8c1d8e, v50
	v_mul_f32_e32 v121, 0x3eb8f4ab, v67
	v_add_f32_e32 v35, v84, v35
	v_mul_f32_e32 v84, 0xbf06c442, v62
	v_add_f32_e32 v9, v13, v9
	v_mov_b32_e32 v13, v121
	v_mov_b32_e32 v30, v84
	v_mul_f32_e32 v31, 0x3f65296c, v64
	v_fmac_f32_e32 v13, 0x3f6eb680, v52
	v_mul_f32_e32 v122, 0xbf65296c, v70
	v_fmac_f32_e32 v30, 0xbf59a7d5, v46
	v_mov_b32_e32 v32, v31
	v_add_f32_e32 v9, v13, v9
	v_mov_b32_e32 v13, v122
	v_add_f32_e32 v30, v41, v30
	v_fmac_f32_e32 v32, 0x3ee437d1, v48
	v_fmac_f32_e32 v13, 0x3ee437d1, v54
	v_mul_f32_e32 v123, 0xbf06c442, v71
	v_add_f32_e32 v30, v32, v30
	v_mul_f32_e32 v32, 0xbf7ee86f, v66
	v_add_f32_e32 v9, v13, v9
	v_mov_b32_e32 v13, v123
	v_mov_b32_e32 v33, v32
	v_mul_f32_e32 v22, 0x3f4c4adb, v67
	v_fmac_f32_e32 v13, 0xbf59a7d5, v56
	v_mul_f32_e32 v124, 0x3f4c4adb, v74
	v_fmac_f32_e32 v33, 0x3dbcf732, v50
	v_mov_b32_e32 v21, v22
	v_mul_f32_e32 v28, 0xbeb8f4ab, v70
	v_add_f32_e32 v9, v13, v9
	v_mov_b32_e32 v13, v124
	v_add_f32_e32 v30, v33, v30
	v_fmac_f32_e32 v21, 0xbf1a4643, v52
	v_mov_b32_e32 v29, v28
	v_fmac_f32_e32 v13, 0xbf1a4643, v58
	v_mul_f32_e32 v125, 0x3f3d2fb0, v75
	v_add_f32_e32 v21, v21, v30
	v_fmac_f32_e32 v29, 0x3f6eb680, v54
	v_add_f32_e32 v13, v13, v9
	v_mov_b32_e32 v9, v125
	v_add_f32_e32 v21, v29, v21
	v_mul_f32_e32 v29, 0xbe3c28d5, v71
	v_fmac_f32_e32 v9, 0xbf2c7751, v61
	v_mul_f32_e32 v126, 0x3f2c7751, v76
	v_mov_b32_e32 v30, v29
	v_mul_f32_e32 v25, 0x3f2c7751, v74
	v_add_f32_e32 v9, v9, v8
	v_mov_b32_e32 v8, v126
	v_fmac_f32_e32 v30, 0xbf7ba420, v56
	v_mov_b32_e32 v20, v25
	v_mul_f32_e32 v26, 0xbf763a35, v76
	v_fmac_f32_e32 v8, 0x3f3d2fb0, v60
	v_mul_f32_e32 v127, 0x3ee437d1, v63
	v_mul_f32_e32 v33, 0xbe8c1d8e, v75
	v_add_f32_e32 v30, v30, v21
	v_fmac_f32_e32 v20, 0x3f3d2fb0, v58
	v_mov_b32_e32 v27, v26
	v_add_f32_e32 v8, v8, v13
	v_mov_b32_e32 v13, v127
	v_mul_f32_e32 v128, 0xbf1a4643, v65
	v_mov_b32_e32 v21, v33
	v_add_f32_e32 v20, v20, v30
	v_fmac_f32_e32 v27, 0xbe8c1d8e, v60
	v_fmac_f32_e32 v13, 0x3f65296c, v47
	v_mov_b32_e32 v14, v128
	v_fmac_f32_e32 v21, 0x3f763a35, v61
	v_add_f32_e32 v20, v27, v20
	v_mul_f32_e32 v27, 0xbf1a4643, v63
	v_add_f32_e32 v13, v42, v13
	v_fmac_f32_e32 v14, 0x3f4c4adb, v49
	v_mul_f32_e32 v129, 0xbf7ba420, v68
	v_add_f32_e32 v21, v21, v35
	v_mov_b32_e32 v30, v27
	v_mul_f32_e32 v35, 0xbe8c1d8e, v65
	v_add_f32_e32 v13, v14, v13
	v_mov_b32_e32 v14, v129
	v_fmac_f32_e32 v30, 0x3f4c4adb, v47
	v_mov_b32_e32 v85, v35
	v_mul_f32_e32 v19, 0x3f6eb680, v68
	v_fmac_f32_e32 v14, 0xbe3c28d5, v51
	v_mul_f32_e32 v130, 0xbe8c1d8e, v69
	v_add_f32_e32 v30, v42, v30
	v_fmac_f32_e32 v85, 0xbf763a35, v49
	v_mov_b32_e32 v18, v19
	v_mul_f32_e32 v24, 0xbf59a7d5, v69
	v_add_f32_e32 v13, v14, v13
	v_mov_b32_e32 v14, v130
	v_add_f32_e32 v30, v85, v30
	v_fmac_f32_e32 v18, 0x3eb8f4ab, v51
	v_mov_b32_e32 v23, v24
	v_fmac_f32_e32 v14, 0xbf763a35, v53
	v_mul_f32_e32 v131, 0x3f3d2fb0, v72
	v_add_f32_e32 v18, v18, v30
	v_fmac_f32_e32 v23, 0x3f06c442, v53
	v_mul_f32_e32 v30, 0x3dbcf732, v72
	v_add_f32_e32 v13, v14, v13
	v_mov_b32_e32 v14, v131
	v_add_f32_e32 v18, v23, v18
	v_mov_b32_e32 v23, v30
	v_fmac_f32_e32 v14, 0xbf2c7751, v55
	v_mul_f32_e32 v132, 0x3f6eb680, v73
	v_fmac_f32_e32 v23, 0xbf7ee86f, v55
	v_mul_f32_e32 v85, 0x3f3d2fb0, v73
	v_add_f32_e32 v13, v14, v13
	v_mov_b32_e32 v14, v132
	v_add_f32_e32 v18, v23, v18
	v_mov_b32_e32 v23, v85
	v_mul_f32_e32 v86, 0xbf7ba420, v77
	v_fmac_f32_e32 v14, 0x3eb8f4ab, v57
	v_mul_f32_e32 v133, 0x3dbcf732, v77
	v_fmac_f32_e32 v23, 0x3f2c7751, v57
	v_mov_b32_e32 v12, v86
	v_mul_f32_e32 v87, 0x3ee437d1, v75
	v_add_f32_e32 v13, v14, v13
	v_mov_b32_e32 v14, v133
	v_add_f32_e32 v18, v23, v18
	v_fmac_f32_e32 v12, 0x3e3c28d5, v59
	v_mov_b32_e32 v15, v87
	v_fmac_f32_e32 v14, 0x3f7ee86f, v59
	v_mul_f32_e32 v134, 0xbf65296c, v62
	v_add_f32_e32 v12, v12, v18
	v_fmac_f32_e32 v15, 0xbf65296c, v61
	v_add_f32_e32 v13, v14, v13
	v_mov_b32_e32 v14, v134
	v_mul_f32_e32 v135, 0xbf4c4adb, v64
	v_add_f32_e32 v12, v15, v12
	v_fmac_f32_e32 v14, 0x3ee437d1, v46
	v_mov_b32_e32 v15, v135
	v_add_f32_e32 v14, v41, v14
	v_fmac_f32_e32 v15, 0xbf1a4643, v48
	v_mul_f32_e32 v136, 0x3e3c28d5, v66
	v_add_f32_e32 v14, v15, v14
	v_mov_b32_e32 v15, v136
	v_fmac_f32_e32 v15, 0xbf7ba420, v50
	v_mul_f32_e32 v137, 0x3f763a35, v67
	v_add_f32_e32 v14, v15, v14
	v_mov_b32_e32 v15, v137
	;; [unrolled: 4-line block ×8, first 2 shown]
	v_mul_f32_e32 v144, 0x3dbcf732, v65
	v_fmac_f32_e32 v15, 0x3f2c7751, v47
	v_mov_b32_e32 v16, v144
	v_add_f32_e32 v15, v42, v15
	v_fmac_f32_e32 v16, 0x3f7ee86f, v49
	v_mul_f32_e32 v145, 0xbf1a4643, v68
	v_add_f32_e32 v15, v16, v15
	v_mov_b32_e32 v16, v145
	v_fmac_f32_e32 v16, 0x3f4c4adb, v51
	v_mul_f32_e32 v146, 0xbf7ba420, v69
	v_add_f32_e32 v15, v16, v15
	v_mov_b32_e32 v16, v146
	;; [unrolled: 4-line block ×6, first 2 shown]
	v_mul_f32_e32 v151, 0xbf7ee86f, v64
	v_fmac_f32_e32 v16, 0x3f3d2fb0, v46
	v_mov_b32_e32 v17, v151
	v_add_f32_e32 v16, v41, v16
	v_fmac_f32_e32 v17, 0x3dbcf732, v48
	v_mul_f32_e32 v152, 0xbf4c4adb, v66
	v_add_f32_e32 v16, v17, v16
	v_mov_b32_e32 v17, v152
	v_fmac_f32_e32 v17, 0xbf1a4643, v50
	v_mul_f32_e32 v153, 0xbe3c28d5, v67
	v_add_f32_e32 v16, v17, v16
	v_mov_b32_e32 v17, v153
	;; [unrolled: 4-line block ×8, first 2 shown]
	v_mul_f32_e32 v65, 0x3f3d2fb0, v65
	v_fmac_f32_e32 v17, 0x3eb8f4ab, v47
	v_mov_b32_e32 v18, v65
	v_add_f32_e32 v17, v42, v17
	v_fmac_f32_e32 v18, 0x3f2c7751, v49
	v_mul_f32_e32 v68, 0x3ee437d1, v68
	v_add_f32_e32 v17, v18, v17
	v_mov_b32_e32 v18, v68
	v_fmac_f32_e32 v18, 0x3f65296c, v51
	v_mul_f32_e32 v69, 0x3dbcf732, v69
	v_add_f32_e32 v17, v18, v17
	v_mov_b32_e32 v18, v69
	;; [unrolled: 4-line block ×6, first 2 shown]
	v_mul_f32_e32 v64, 0xbf2c7751, v64
	v_fmac_f32_e32 v18, 0x3f6eb680, v46
	v_mov_b32_e32 v23, v64
	v_add_f32_e32 v18, v41, v18
	v_fmac_f32_e32 v23, 0x3f3d2fb0, v48
	v_mul_f32_e32 v66, 0xbf65296c, v66
	v_add_f32_e32 v18, v23, v18
	v_mov_b32_e32 v23, v66
	v_fmac_f32_e32 v23, 0x3ee437d1, v50
	v_mul_f32_e32 v67, 0xbf7ee86f, v67
	v_add_f32_e32 v18, v23, v18
	v_mov_b32_e32 v23, v67
	;; [unrolled: 4-line block ×7, first 2 shown]
	v_fmac_f32_e32 v17, 0xbf7ba420, v60
	v_fmac_f32_e32 v78, 0xbf06c442, v47
	v_add_f32_e32 v17, v17, v23
	v_add_f32_e32 v23, v42, v78
	v_fmac_f32_e32 v79, 0x3f65296c, v49
	v_add_f32_e32 v23, v79, v23
	v_fmac_f32_e32 v80, 0xbf7ee86f, v51
	;; [unrolled: 2-line block ×4, first 2 shown]
	v_add_f32_e32 v23, v34, v23
	v_fma_f32 v34, v46, s6, -v84
	v_add_f32_e32 v34, v41, v34
	v_fma_f32 v31, v48, s11, -v31
	;; [unrolled: 2-line block ×8, first 2 shown]
	v_fmac_f32_e32 v27, 0xbf4c4adb, v47
	v_add_f32_e32 v22, v25, v22
	v_add_f32_e32 v25, v42, v27
	v_fmac_f32_e32 v35, 0x3f763a35, v49
	v_add_f32_e32 v25, v35, v25
	v_fmac_f32_e32 v19, 0xbeb8f4ab, v51
	;; [unrolled: 2-line block ×3, first 2 shown]
	v_add_f32_e32 v19, v24, v19
	v_fma_f32 v24, v46, s10, -v88
	v_add_f32_e32 v24, v41, v24
	v_fma_f32 v25, v48, s14, -v89
	;; [unrolled: 2-line block ×3, first 2 shown]
	v_fmac_f32_e32 v30, 0x3f7ee86f, v55
	v_add_f32_e32 v24, v25, v24
	v_fma_f32 v25, v52, s6, -v91
	v_add_f32_e32 v19, v30, v19
	v_fmac_f32_e32 v85, 0xbf2c7751, v57
	v_add_f32_e32 v24, v25, v24
	v_fma_f32 v10, v54, s15, -v10
	v_add_f32_e32 v19, v85, v19
	v_fmac_f32_e32 v86, 0xbe3c28d5, v59
	v_add_f32_e32 v10, v10, v24
	v_fma_f32 v24, v56, s7, -v92
	v_add_f32_e32 v19, v86, v19
	v_add_f32_e32 v10, v24, v10
	v_fma_f32 v24, v58, s4, -v93
	v_fmac_f32_e32 v87, 0x3f65296c, v61
	v_add_f32_e32 v10, v24, v10
	v_add_f32_e32 v25, v87, v19
	v_fma_f32 v19, v60, s11, -v94
	v_fmac_f32_e32 v95, 0xbf763a35, v47
	v_add_f32_e32 v24, v19, v10
	v_add_f32_e32 v10, v42, v95
	v_fmac_f32_e32 v96, 0x3f06c442, v49
	v_fma_f32 v19, v46, s14, -v102
	v_add_f32_e32 v10, v96, v10
	v_fmac_f32_e32 v97, 0x3f2c7751, v51
	v_add_f32_e32 v19, v41, v19
	v_fma_f32 v26, v48, s6, -v103
	v_add_f32_e32 v10, v97, v10
	v_fmac_f32_e32 v98, 0xbf65296c, v53
	v_add_f32_e32 v19, v26, v19
	v_fma_f32 v26, v50, s7, -v104
	v_add_f32_e32 v10, v98, v10
	v_fmac_f32_e32 v99, 0xbe3c28d5, v55
	v_add_f32_e32 v19, v26, v19
	v_fma_f32 v26, v52, s11, -v105
	v_add_f32_e32 v10, v99, v10
	v_fmac_f32_e32 v100, 0x3f7ee86f, v57
	v_add_f32_e32 v19, v26, v19
	v_fma_f32 v26, v54, s4, -v106
	v_add_f32_e32 v10, v100, v10
	v_fmac_f32_e32 v101, 0xbeb8f4ab, v59
	v_add_f32_e32 v19, v26, v19
	v_fma_f32 v26, v56, s15, -v107
	v_add_f32_e32 v10, v101, v10
	v_add_f32_e32 v19, v26, v19
	v_fma_f32 v26, v58, s5, -v108
	v_fmac_f32_e32 v109, 0xbf4c4adb, v61
	v_add_f32_e32 v19, v26, v19
	v_add_f32_e32 v27, v109, v10
	v_fma_f32 v10, v60, s10, -v110
	v_fmac_f32_e32 v111, 0xbf7ee86f, v47
	v_add_f32_e32 v26, v10, v19
	v_add_f32_e32 v10, v42, v111
	v_fmac_f32_e32 v112, 0xbe3c28d5, v49
	v_fma_f32 v19, v46, s15, -v118
	v_add_f32_e32 v10, v112, v10
	v_fmac_f32_e32 v113, 0x3f763a35, v51
	v_add_f32_e32 v19, v41, v19
	v_fma_f32 v28, v48, s4, -v119
	v_add_f32_e32 v10, v113, v10
	v_fmac_f32_e32 v114, 0x3eb8f4ab, v53
	v_add_f32_e32 v19, v28, v19
	v_fma_f32 v28, v50, s14, -v120
	v_add_f32_e32 v10, v114, v10
	v_fmac_f32_e32 v115, 0xbf65296c, v55
	v_add_f32_e32 v19, v28, v19
	v_fma_f32 v28, v52, s5, -v121
	v_add_f32_e32 v10, v115, v10
	v_fmac_f32_e32 v116, 0xbf06c442, v57
	v_add_f32_e32 v19, v28, v19
	v_fma_f32 v28, v54, s11, -v122
	v_add_f32_e32 v10, v116, v10
	v_fmac_f32_e32 v117, 0x3f4c4adb, v59
	v_add_f32_e32 v19, v28, v19
	v_fma_f32 v28, v56, s6, -v123
	v_add_f32_e32 v10, v117, v10
	v_add_f32_e32 v19, v28, v19
	v_fma_f32 v28, v58, s10, -v124
	v_fmac_f32_e32 v125, 0x3f2c7751, v61
	v_add_f32_e32 v19, v28, v19
	v_add_f32_e32 v29, v125, v10
	v_fma_f32 v10, v60, s7, -v126
	v_fmac_f32_e32 v127, 0xbf65296c, v47
	v_add_f32_e32 v28, v10, v19
	v_add_f32_e32 v10, v42, v127
	v_fmac_f32_e32 v128, 0xbf4c4adb, v49
	v_fma_f32 v19, v46, s11, -v134
	v_add_f32_e32 v10, v128, v10
	v_fmac_f32_e32 v129, 0x3e3c28d5, v51
	v_add_f32_e32 v19, v41, v19
	v_fma_f32 v30, v48, s10, -v135
	v_add_f32_e32 v10, v129, v10
	v_fmac_f32_e32 v130, 0x3f763a35, v53
	v_add_f32_e32 v19, v30, v19
	v_fma_f32 v30, v50, s4, -v136
	v_add_f32_e32 v10, v130, v10
	v_fmac_f32_e32 v131, 0x3f2c7751, v55
	v_add_f32_e32 v19, v30, v19
	v_fma_f32 v30, v52, s14, -v137
	v_add_f32_e32 v10, v131, v10
	v_fmac_f32_e32 v132, 0xbeb8f4ab, v57
	v_add_f32_e32 v19, v30, v19
	v_fma_f32 v30, v54, s7, -v138
	v_add_f32_e32 v10, v132, v10
	v_fmac_f32_e32 v133, 0xbf7ee86f, v59
	v_add_f32_e32 v19, v30, v19
	v_fma_f32 v30, v56, s5, -v139
	v_add_f32_e32 v10, v133, v10
	v_add_f32_e32 v19, v30, v19
	v_fma_f32 v30, v58, s15, -v140
	v_fmac_f32_e32 v141, 0xbf06c442, v61
	v_add_f32_e32 v19, v30, v19
	v_add_f32_e32 v31, v141, v10
	v_fma_f32 v10, v60, s6, -v142
	v_fmac_f32_e32 v143, 0xbf2c7751, v47
	v_add_f32_e32 v30, v10, v19
	v_add_f32_e32 v10, v42, v143
	v_fmac_f32_e32 v144, 0xbf7ee86f, v49
	v_add_f32_e32 v10, v144, v10
	v_fmac_f32_e32 v145, 0xbf4c4adb, v51
	;; [unrolled: 2-line block ×4, first 2 shown]
	v_fmac_f32_e32 v82, 0xbe3c28d5, v57
	v_add_f32_e32 v10, v147, v10
	v_fmac_f32_e32 v148, 0x3f763a35, v57
	v_add_f32_e32 v23, v82, v23
	v_fmac_f32_e32 v83, 0x3f2c7751, v59
	v_add_f32_e32 v10, v148, v10
	v_fmac_f32_e32 v149, 0x3f65296c, v59
	v_add_f32_e32 v23, v83, v23
	v_fmac_f32_e32 v33, 0xbf763a35, v61
	v_add_f32_e32 v10, v149, v10
	v_fmac_f32_e32 v157, 0x3eb8f4ab, v61
	v_add_f32_e32 v23, v33, v23
	v_add_f32_e32 v33, v157, v10
	v_fma_f32 v10, v46, s7, -v150
	v_add_f32_e32 v10, v41, v10
	v_fma_f32 v19, v48, s15, -v151
	;; [unrolled: 2-line block ×8, first 2 shown]
	v_fmac_f32_e32 v63, 0xbeb8f4ab, v47
	v_add_f32_e32 v32, v19, v10
	v_add_f32_e32 v10, v42, v63
	v_fmac_f32_e32 v65, 0xbf2c7751, v49
	v_add_f32_e32 v10, v65, v10
	v_fmac_f32_e32 v68, 0xbf65296c, v51
	v_add_f32_e32 v10, v68, v10
	v_fmac_f32_e32 v69, 0xbf7ee86f, v53
	v_add_f32_e32 v10, v69, v10
	v_fmac_f32_e32 v72, 0xbf763a35, v55
	v_add_f32_e32 v10, v72, v10
	v_fmac_f32_e32 v73, 0xbf4c4adb, v57
	v_add_f32_e32 v10, v73, v10
	v_fmac_f32_e32 v77, 0xbf06c442, v59
	v_add_f32_e32 v10, v77, v10
	v_fmac_f32_e32 v75, 0xbe3c28d5, v61
	v_add_f32_e32 v35, v75, v10
	v_fma_f32 v10, v46, s5, -v62
	v_add_f32_e32 v10, v41, v10
	v_fma_f32 v19, v48, s7, -v64
	;; [unrolled: 2-line block ×8, first 2 shown]
	v_add_f32_e32 v34, v19, v10
	v_mul_u32_u24_e32 v10, 0x88, v36
	v_add3_u32 v10, 0, v10, v45
	ds_write2_b64 v10, v[4:5], v[17:18] offset1:1
	ds_write2_b64 v10, v[15:16], v[13:14] offset0:2 offset1:3
	ds_write2_b64 v10, v[8:9], v[6:7] offset0:4 offset1:5
	;; [unrolled: 1-line block ×7, first 2 shown]
	ds_write_b64 v10, v[34:35] offset:128
.LBB0_12:
	s_or_b64 exec, exec, s[2:3]
	s_waitcnt lgkmcnt(0)
	s_barrier
	ds_read2_b64 v[4:7], v44 offset0:102 offset1:153
	ds_read2_b64 v[8:11], v44 offset0:34 offset1:68
	;; [unrolled: 1-line block ×3, first 2 shown]
	ds_read_b64 v[18:19], v43
	ds_read_b64 v[20:21], v44 offset:2040
	v_cmp_gt_u32_e64 s[0:1], 17, v36
	s_and_saveexec_b64 s[2:3], s[0:1]
	s_cbranch_execz .LBB0_14
; %bb.13:
	v_add_u32_e32 v0, 0x400, v44
	ds_read2_b64 v[0:3], v0 offset0:8 offset1:161
.LBB0_14:
	s_or_b64 exec, exec, s[2:3]
	v_subrev_u32_e32 v16, 17, v36
	v_cndmask_b32_e64 v16, v16, v36, s[0:1]
	v_mov_b32_e32 v17, 0
	v_lshlrev_b64 v[22:23], 3, v[16:17]
	v_mov_b32_e32 v25, s9
	v_add_co_u32_e64 v24, s[2:3], s8, v22
	v_add_u16_e32 v22, 34, v36
	s_movk_i32 s4, 0xf1
	v_addc_co_u32_e64 v25, s[2:3], v25, v23, s[2:3]
	v_mul_lo_u16_sdwa v23, v22, s4 dst_sel:DWORD dst_unused:UNUSED_PAD src0_sel:BYTE_0 src1_sel:DWORD
	v_lshrrev_b16_e32 v31, 12, v23
	v_mul_lo_u16_e32 v23, 17, v31
	v_sub_u16_e32 v23, v22, v23
	v_mov_b32_e32 v22, 3
	v_lshlrev_b32_sdwa v32, v22, v23 dst_sel:DWORD dst_unused:UNUSED_PAD src0_sel:DWORD src1_sel:BYTE_0
	v_add_u16_e32 v23, 0x44, v36
	v_mul_lo_u16_sdwa v26, v23, s4 dst_sel:DWORD dst_unused:UNUSED_PAD src0_sel:BYTE_0 src1_sel:DWORD
	v_lshrrev_b16_e32 v33, 12, v26
	v_mul_lo_u16_e32 v26, 17, v33
	v_sub_u16_e32 v23, v23, v26
	v_add_u16_e32 v27, 0x66, v36
	v_lshlrev_b32_sdwa v34, v22, v23 dst_sel:DWORD dst_unused:UNUSED_PAD src0_sel:DWORD src1_sel:BYTE_0
	global_load_dwordx2 v[23:24], v[24:25], off
	v_mul_lo_u16_sdwa v25, v27, s4 dst_sel:DWORD dst_unused:UNUSED_PAD src0_sel:BYTE_0 src1_sel:DWORD
	v_lshrrev_b16_e32 v35, 12, v25
	v_mul_lo_u16_e32 v28, 17, v35
	v_sub_u16_e32 v29, v27, v28
	v_lshlrev_b32_sdwa v41, v22, v29 dst_sel:DWORD dst_unused:UNUSED_PAD src0_sel:DWORD src1_sel:BYTE_0
	global_load_dwordx2 v[25:26], v32, s[8:9]
	global_load_dwordx2 v[27:28], v34, s[8:9]
	;; [unrolled: 1-line block ×3, first 2 shown]
	s_movk_i32 s5, 0x110
	v_mad_u32_u24 v31, v31, s5, 0
	v_mad_u32_u24 v33, v33, s5, 0
	v_mov_b32_e32 v42, 0x110
	v_cmp_lt_u32_e64 s[2:3], 16, v36
	v_add3_u32 v31, v31, v32, v45
	v_add3_u32 v32, v33, v34, v45
	v_cndmask_b32_e64 v42, 0, v42, s[2:3]
	v_add_u32_e32 v42, 0, v42
	v_lshlrev_b32_e32 v16, 3, v16
	v_add3_u32 v16, v42, v16, v45
	v_mad_u32_u24 v35, v35, s5, 0
	s_waitcnt vmcnt(0) lgkmcnt(0)
	s_barrier
	v_add3_u32 v33, v35, v41, v45
	v_mul_f32_e32 v34, v24, v7
	v_mul_f32_e32 v24, v24, v6
	v_fmac_f32_e32 v34, v23, v6
	v_fma_f32 v7, v23, v7, -v24
	v_sub_f32_e32 v7, v19, v7
	v_mul_f32_e32 v23, v26, v13
	v_mul_f32_e32 v6, v26, v12
	;; [unrolled: 1-line block ×6, first 2 shown]
	v_fmac_f32_e32 v23, v25, v12
	v_fma_f32 v25, v25, v13, -v6
	v_fmac_f32_e32 v24, v27, v14
	v_fma_f32 v26, v27, v15, -v26
	v_fmac_f32_e32 v28, v29, v20
	v_fma_f32 v21, v29, v21, -v30
	v_sub_f32_e32 v6, v18, v34
	v_fma_f32 v12, v18, 2.0, -v6
	v_fma_f32 v13, v19, 2.0, -v7
	v_sub_f32_e32 v14, v8, v23
	v_sub_f32_e32 v15, v9, v25
	;; [unrolled: 1-line block ×6, first 2 shown]
	v_fma_f32 v8, v8, 2.0, -v14
	v_fma_f32 v9, v9, 2.0, -v15
	;; [unrolled: 1-line block ×6, first 2 shown]
	ds_write2_b64 v16, v[12:13], v[6:7] offset1:17
	ds_write2_b64 v31, v[8:9], v[14:15] offset1:17
	;; [unrolled: 1-line block ×4, first 2 shown]
	s_and_saveexec_b64 s[2:3], s[0:1]
	s_cbranch_execz .LBB0_16
; %bb.15:
	v_add_u16_e32 v4, 0x88, v36
	v_mul_lo_u16_sdwa v5, v4, s4 dst_sel:DWORD dst_unused:UNUSED_PAD src0_sel:BYTE_0 src1_sel:DWORD
	v_lshrrev_b16_e32 v5, 12, v5
	v_mul_lo_u16_e32 v5, 17, v5
	v_sub_u16_e32 v4, v4, v5
	v_lshlrev_b32_sdwa v6, v22, v4 dst_sel:DWORD dst_unused:UNUSED_PAD src0_sel:DWORD src1_sel:BYTE_0
	global_load_dwordx2 v[4:5], v6, s[8:9]
	v_add3_u32 v6, 0, v6, v45
	s_waitcnt vmcnt(0)
	v_mul_f32_e32 v7, v2, v5
	v_mul_f32_e32 v5, v3, v5
	v_fma_f32 v3, v3, v4, -v7
	v_fmac_f32_e32 v5, v2, v4
	v_sub_f32_e32 v3, v1, v3
	v_sub_f32_e32 v2, v0, v5
	v_fma_f32 v1, v1, 2.0, -v3
	v_fma_f32 v0, v0, 2.0, -v2
	v_add_u32_e32 v4, 0x800, v6
	ds_write2_b64 v4, v[0:1], v[2:3] offset0:16 offset1:33
.LBB0_16:
	s_or_b64 exec, exec, s[2:3]
	v_mov_b32_e32 v41, v17
	v_lshlrev_b64 v[0:1], 3, v[40:41]
	v_mov_b32_e32 v2, s9
	v_add_co_u32_e64 v16, s[2:3], s8, v0
	v_addc_co_u32_e64 v17, s[2:3], v2, v1, s[2:3]
	s_waitcnt lgkmcnt(0)
	s_barrier
	global_load_dwordx4 v[0:3], v[16:17], off offset:136
	global_load_dwordx4 v[4:7], v[16:17], off offset:152
	;; [unrolled: 1-line block ×4, first 2 shown]
	v_add_u32_e32 v28, 0x400, v44
	ds_read_b64 v[32:33], v43
	ds_read2_b64 v[16:19], v44 offset0:34 offset1:68
	ds_read2_b64 v[20:23], v44 offset0:102 offset1:136
	;; [unrolled: 1-line block ×4, first 2 shown]
	s_waitcnt lgkmcnt(4)
	v_mov_b32_e32 v34, v32
	v_mov_b32_e32 v35, v33
	s_mov_b32 s2, 0xbf248dbb
	s_waitcnt vmcnt(0) lgkmcnt(0)
	s_barrier
	v_mul_f32_e32 v41, v1, v17
	v_mul_f32_e32 v1, v1, v16
	;; [unrolled: 1-line block ×16, first 2 shown]
	v_fmac_f32_e32 v41, v0, v16
	v_fma_f32 v0, v0, v17, -v1
	v_fmac_f32_e32 v42, v2, v18
	v_fma_f32 v1, v2, v19, -v3
	v_fma_f32 v2, v4, v21, -v5
	v_fmac_f32_e32 v50, v30, v14
	v_fma_f32 v5, v31, v14, -v15
	v_fmac_f32_e32 v45, v4, v20
	v_fmac_f32_e32 v46, v6, v22
	v_fma_f32 v16, v6, v23, -v7
	v_fmac_f32_e32 v47, v8, v24
	v_fma_f32 v17, v8, v25, -v9
	v_fma_f32 v3, v27, v10, -v11
	v_fmac_f32_e32 v49, v28, v12
	v_fma_f32 v4, v29, v12, -v13
	v_sub_f32_e32 v12, v41, v50
	v_sub_f32_e32 v13, v0, v5
	v_fmac_f32_e32 v48, v26, v10
	v_add_f32_e32 v14, v41, v50
	v_add_f32_e32 v15, v0, v5
	;; [unrolled: 1-line block ×3, first 2 shown]
	v_sub_f32_e32 v22, v42, v49
	v_sub_f32_e32 v23, v1, v4
	;; [unrolled: 1-line block ×5, first 2 shown]
	v_mul_f32_e32 v3, 0x3f248dbb, v12
	v_mul_f32_e32 v2, 0x3f248dbb, v13
	v_add_f32_e32 v18, v42, v49
	v_add_f32_e32 v19, v1, v4
	v_sub_f32_e32 v24, v45, v48
	v_fmac_f32_e32 v34, 0x3f441b7d, v14
	v_fmac_f32_e32 v35, 0x3f441b7d, v15
	v_mul_f32_e32 v7, 0xbf248dbb, v26
	v_mul_f32_e32 v6, 0xbf248dbb, v27
	v_fmac_f32_e32 v3, 0x3f7c1c5c, v22
	v_fmac_f32_e32 v2, 0x3f7c1c5c, v23
	v_add_f32_e32 v20, v45, v48
	v_fmac_f32_e32 v34, 0x3e31d0d4, v18
	v_fmac_f32_e32 v35, 0x3e31d0d4, v19
	;; [unrolled: 1-line block ×6, first 2 shown]
	v_add_f32_e32 v28, v46, v47
	v_add_f32_e32 v29, v16, v17
	v_fmac_f32_e32 v34, -0.5, v20
	v_fmac_f32_e32 v35, -0.5, v21
	v_fmac_f32_e32 v3, 0x3eaf1d44, v26
	v_fmac_f32_e32 v2, 0x3eaf1d44, v27
	;; [unrolled: 1-line block ×4, first 2 shown]
	v_add_f32_e32 v8, v26, v12
	v_add_f32_e32 v9, v27, v13
	v_mul_f32_e32 v26, 0x3f7c1c5c, v26
	v_mul_f32_e32 v27, 0x3f7c1c5c, v27
	v_fmac_f32_e32 v34, 0xbf708fb2, v28
	v_fmac_f32_e32 v35, 0xbf708fb2, v29
	;; [unrolled: 1-line block ×4, first 2 shown]
	v_sub_f32_e32 v10, v8, v22
	v_sub_f32_e32 v11, v9, v23
	v_fma_f32 v22, v22, s2, -v26
	v_fma_f32 v23, v23, s2, -v27
	v_sub_f32_e32 v0, v34, v2
	v_add_f32_e32 v1, v3, v35
	v_add_f32_e32 v34, v18, v14
	;; [unrolled: 1-line block ×3, first 2 shown]
	v_fmac_f32_e32 v22, 0x3f5db3d7, v24
	v_fmac_f32_e32 v23, 0x3f5db3d7, v25
	;; [unrolled: 1-line block ×4, first 2 shown]
	v_add_f32_e32 v12, v20, v34
	v_add_f32_e32 v13, v21, v35
	;; [unrolled: 1-line block ×4, first 2 shown]
	v_mov_b32_e32 v4, v32
	v_mov_b32_e32 v5, v33
	v_add_f32_e32 v12, v47, v12
	v_add_f32_e32 v13, v17, v13
	v_fmac_f32_e32 v4, 0x3f441b7d, v28
	v_fmac_f32_e32 v5, 0x3f441b7d, v29
	v_add_f32_e32 v8, v20, v32
	v_add_f32_e32 v9, v21, v33
	;; [unrolled: 1-line block ×4, first 2 shown]
	v_fmac_f32_e32 v32, 0x3f441b7d, v18
	v_fmac_f32_e32 v33, 0x3f441b7d, v19
	;; [unrolled: 1-line block ×6, first 2 shown]
	v_fmac_f32_e32 v4, -0.5, v20
	v_fmac_f32_e32 v5, -0.5, v21
	v_add_f32_e32 v41, v28, v34
	v_add_f32_e32 v42, v29, v35
	v_fmac_f32_e32 v32, -0.5, v20
	v_fmac_f32_e32 v33, -0.5, v21
	v_fmac_f32_e32 v4, 0xbf708fb2, v18
	v_fmac_f32_e32 v5, 0xbf708fb2, v19
	v_fmac_f32_e32 v8, -0.5, v41
	v_fmac_f32_e32 v9, -0.5, v42
	v_fmac_f32_e32 v32, 0xbf708fb2, v14
	v_fmac_f32_e32 v33, 0xbf708fb2, v15
	v_sub_f32_e32 v4, v4, v6
	v_add_f32_e32 v5, v7, v5
	v_mul_f32_e32 v30, 0x3f5db3d7, v10
	v_mul_f32_e32 v31, 0x3f5db3d7, v11
	v_fmac_f32_e32 v8, 0xbf5db3d7, v11
	v_fmac_f32_e32 v9, 0x3f5db3d7, v10
	v_sub_f32_e32 v14, v32, v23
	v_add_f32_e32 v15, v22, v33
	v_fma_f32 v2, 2.0, v2, v0
	v_fma_f32 v3, -2.0, v3, v1
	v_fma_f32 v6, 2.0, v6, v4
	v_fma_f32 v7, -2.0, v7, v5
	;; [unrolled: 2-line block ×4, first 2 shown]
	ds_write2_b64 v44, v[12:13], v[0:1] offset1:34
	ds_write2_b64 v44, v[4:5], v[8:9] offset0:68 offset1:102
	ds_write2_b64 v44, v[14:15], v[16:17] offset0:136 offset1:170
	;; [unrolled: 1-line block ×3, first 2 shown]
	ds_write_b64 v44, v[2:3] offset:2176
	s_waitcnt lgkmcnt(0)
	s_barrier
	ds_read_b64 v[0:1], v43
	v_sub_u32_e32 v4, v37, v40
	v_cmp_ne_u32_e64 s[2:3], 0, v36
                                        ; implicit-def: $vgpr6
                                        ; implicit-def: $vgpr5
                                        ; implicit-def: $vgpr2_vgpr3
	s_and_saveexec_b64 s[4:5], s[2:3]
	s_xor_b64 s[4:5], exec, s[4:5]
	s_cbranch_execz .LBB0_18
; %bb.17:
	v_mov_b32_e32 v37, 0
	v_lshlrev_b64 v[2:3], 3, v[36:37]
	v_mov_b32_e32 v5, s9
	v_add_co_u32_e64 v2, s[2:3], s8, v2
	v_addc_co_u32_e64 v3, s[2:3], v5, v3, s[2:3]
	global_load_dwordx2 v[2:3], v[2:3], off offset:2312
	ds_read_b64 v[5:6], v4 offset:2448
	s_waitcnt lgkmcnt(0)
	v_add_f32_e32 v7, v5, v0
	v_add_f32_e32 v8, v6, v1
	v_sub_f32_e32 v0, v0, v5
	v_sub_f32_e32 v1, v1, v6
	v_mul_f32_e32 v6, 0.5, v8
	v_mul_f32_e32 v0, 0.5, v0
	v_mul_f32_e32 v1, 0.5, v1
	s_waitcnt vmcnt(0)
	v_mul_f32_e32 v8, v3, v0
	v_fma_f32 v9, v6, v3, v1
	v_fma_f32 v1, v6, v3, -v1
	v_fma_f32 v5, 0.5, v7, v8
	v_fma_f32 v3, -v2, v0, v9
	v_fma_f32 v7, v7, 0.5, -v8
	v_fma_f32 v0, -v2, v0, v1
	v_fmac_f32_e32 v5, v2, v6
	ds_write_b32 v43, v3 offset:4
	v_fma_f32 v6, -v2, v6, v7
	v_mov_b32_e32 v2, v36
	ds_write_b32 v4, v0 offset:2452
	v_mov_b32_e32 v3, v37
                                        ; implicit-def: $vgpr0_vgpr1
                                        ; implicit-def: $vgpr37
.LBB0_18:
	s_andn2_saveexec_b64 s[2:3], s[4:5]
	s_cbranch_execz .LBB0_20
; %bb.19:
	v_mov_b32_e32 v2, 0
	ds_write_b32 v43, v2 offset:4
	ds_write_b32 v4, v2 offset:2452
	ds_read_b32 v2, v37 offset:1228
	s_waitcnt lgkmcnt(3)
	v_add_f32_e32 v5, v0, v1
	v_sub_f32_e32 v6, v0, v1
	s_waitcnt lgkmcnt(0)
	v_xor_b32_e32 v0, 0x80000000, v2
	v_mov_b32_e32 v2, 0
	v_mov_b32_e32 v3, 0
	ds_write_b32 v37, v0 offset:1228
.LBB0_20:
	s_or_b64 exec, exec, s[2:3]
	s_add_u32 s2, s8, 0x908
	s_waitcnt lgkmcnt(0)
	v_lshlrev_b64 v[0:1], 3, v[2:3]
	s_addc_u32 s3, s9, 0
	v_mov_b32_e32 v3, s3
	v_add_co_u32_e64 v2, s[2:3], s2, v0
	v_addc_co_u32_e64 v3, s[2:3], v3, v1, s[2:3]
	global_load_dwordx2 v[7:8], v[2:3], off offset:272
	global_load_dwordx2 v[9:10], v[2:3], off offset:544
	;; [unrolled: 1-line block ×3, first 2 shown]
	ds_write_b32 v43, v5
	ds_write_b32 v4, v6 offset:2448
	ds_read_b64 v[5:6], v43 offset:272
	ds_read_b64 v[13:14], v4 offset:2176
	s_waitcnt lgkmcnt(0)
	v_add_f32_e32 v15, v5, v13
	v_sub_f32_e32 v5, v5, v13
	v_add_f32_e32 v16, v6, v14
	v_sub_f32_e32 v6, v6, v14
	v_mul_f32_e32 v14, 0.5, v5
	v_mul_f32_e32 v13, 0.5, v16
	v_mul_f32_e32 v5, 0.5, v6
	s_waitcnt vmcnt(2)
	v_mul_f32_e32 v16, v8, v14
	v_fma_f32 v6, v13, v8, v5
	v_fma_f32 v8, v13, v8, -v5
	v_fma_f32 v5, 0.5, v15, v16
	v_fma_f32 v6, -v7, v14, v6
	v_fma_f32 v15, v15, 0.5, -v16
	v_fmac_f32_e32 v5, v7, v13
	v_fma_f32 v8, -v7, v14, v8
	v_fma_f32 v7, -v7, v13, v15
	ds_write_b64 v43, v[5:6] offset:272
	ds_write_b64 v4, v[7:8] offset:2176
	ds_read_b64 v[5:6], v43 offset:544
	ds_read_b64 v[7:8], v4 offset:1904
	s_waitcnt lgkmcnt(0)
	v_add_f32_e32 v13, v5, v7
	v_sub_f32_e32 v5, v5, v7
	v_add_f32_e32 v14, v6, v8
	v_sub_f32_e32 v6, v6, v8
	v_mul_f32_e32 v8, 0.5, v5
	v_mul_f32_e32 v7, 0.5, v14
	v_mul_f32_e32 v5, 0.5, v6
	s_waitcnt vmcnt(1)
	v_mul_f32_e32 v14, v10, v8
	v_fma_f32 v6, v7, v10, v5
	v_fma_f32 v10, v7, v10, -v5
	v_fma_f32 v5, 0.5, v13, v14
	v_fma_f32 v6, -v9, v8, v6
	v_fma_f32 v13, v13, 0.5, -v14
	v_fmac_f32_e32 v5, v9, v7
	v_fma_f32 v8, -v9, v8, v10
	v_fma_f32 v7, -v9, v7, v13
	ds_write_b64 v43, v[5:6] offset:544
	ds_write_b64 v4, v[7:8] offset:1904
	;; [unrolled: 22-line block ×3, first 2 shown]
	s_and_saveexec_b64 s[2:3], s[0:1]
	s_cbranch_execz .LBB0_22
; %bb.21:
	global_load_dwordx2 v[2:3], v[2:3], off offset:1088
	ds_read_b64 v[5:6], v43 offset:1088
	ds_read_b64 v[7:8], v4 offset:1360
	s_waitcnt lgkmcnt(0)
	v_add_f32_e32 v9, v5, v7
	v_sub_f32_e32 v5, v5, v7
	v_add_f32_e32 v10, v6, v8
	v_sub_f32_e32 v6, v6, v8
	v_mul_f32_e32 v8, 0.5, v5
	v_mul_f32_e32 v7, 0.5, v10
	;; [unrolled: 1-line block ×3, first 2 shown]
	s_waitcnt vmcnt(0)
	v_mul_f32_e32 v10, v3, v8
	v_fma_f32 v6, v7, v3, v5
	v_fma_f32 v3, v7, v3, -v5
	v_fma_f32 v5, 0.5, v9, v10
	v_fma_f32 v6, -v2, v8, v6
	v_fma_f32 v9, v9, 0.5, -v10
	v_fmac_f32_e32 v5, v2, v7
	v_fma_f32 v3, -v2, v8, v3
	v_fma_f32 v2, -v2, v7, v9
	ds_write_b64 v43, v[5:6] offset:1088
	ds_write_b64 v4, v[2:3] offset:1360
.LBB0_22:
	s_or_b64 exec, exec, s[2:3]
	s_waitcnt lgkmcnt(0)
	s_barrier
	s_and_saveexec_b64 s[0:1], vcc
	s_cbranch_execz .LBB0_25
; %bb.23:
	ds_read2_b64 v[4:7], v43 offset1:34
	v_mov_b32_e32 v3, s13
	v_add_co_u32_e32 v2, vcc, s12, v38
	v_addc_co_u32_e32 v3, vcc, v3, v39, vcc
	v_add_co_u32_e32 v0, vcc, v2, v0
	v_addc_co_u32_e32 v1, vcc, v3, v1, vcc
	ds_read2_b64 v[8:11], v43 offset0:68 offset1:102
	s_waitcnt lgkmcnt(1)
	global_store_dwordx2 v[0:1], v[4:5], off
	global_store_dwordx2 v[0:1], v[6:7], off offset:272
	ds_read2_b64 v[4:7], v43 offset0:136 offset1:170
	ds_read2_b64 v[12:15], v43 offset0:204 offset1:238
	v_cmp_eq_u32_e32 vcc, 33, v36
	s_waitcnt lgkmcnt(2)
	global_store_dwordx2 v[0:1], v[8:9], off offset:544
	ds_read_b64 v[8:9], v43 offset:2176
	global_store_dwordx2 v[0:1], v[10:11], off offset:816
	s_waitcnt lgkmcnt(2)
	global_store_dwordx2 v[0:1], v[4:5], off offset:1088
	global_store_dwordx2 v[0:1], v[6:7], off offset:1360
	s_waitcnt lgkmcnt(1)
	global_store_dwordx2 v[0:1], v[12:13], off offset:1632
	;; [unrolled: 3-line block ×3, first 2 shown]
	s_and_b64 exec, exec, vcc
	s_cbranch_execz .LBB0_25
; %bb.24:
	ds_read_b64 v[0:1], v43 offset:2184
	s_waitcnt lgkmcnt(0)
	global_store_dwordx2 v[2:3], v[0:1], off offset:2448
.LBB0_25:
	s_endpgm
	.section	.rodata,"a",@progbits
	.p2align	6, 0x0
	.amdhsa_kernel fft_rtc_back_len306_factors_17_2_9_wgs_238_tpt_34_halfLds_sp_ip_CI_unitstride_sbrr_R2C_dirReg
		.amdhsa_group_segment_fixed_size 0
		.amdhsa_private_segment_fixed_size 0
		.amdhsa_kernarg_size 88
		.amdhsa_user_sgpr_count 6
		.amdhsa_user_sgpr_private_segment_buffer 1
		.amdhsa_user_sgpr_dispatch_ptr 0
		.amdhsa_user_sgpr_queue_ptr 0
		.amdhsa_user_sgpr_kernarg_segment_ptr 1
		.amdhsa_user_sgpr_dispatch_id 0
		.amdhsa_user_sgpr_flat_scratch_init 0
		.amdhsa_user_sgpr_private_segment_size 0
		.amdhsa_uses_dynamic_stack 0
		.amdhsa_system_sgpr_private_segment_wavefront_offset 0
		.amdhsa_system_sgpr_workgroup_id_x 1
		.amdhsa_system_sgpr_workgroup_id_y 0
		.amdhsa_system_sgpr_workgroup_id_z 0
		.amdhsa_system_sgpr_workgroup_info 0
		.amdhsa_system_vgpr_workitem_id 0
		.amdhsa_next_free_vgpr 159
		.amdhsa_next_free_sgpr 22
		.amdhsa_reserve_vcc 1
		.amdhsa_reserve_flat_scratch 0
		.amdhsa_float_round_mode_32 0
		.amdhsa_float_round_mode_16_64 0
		.amdhsa_float_denorm_mode_32 3
		.amdhsa_float_denorm_mode_16_64 3
		.amdhsa_dx10_clamp 1
		.amdhsa_ieee_mode 1
		.amdhsa_fp16_overflow 0
		.amdhsa_exception_fp_ieee_invalid_op 0
		.amdhsa_exception_fp_denorm_src 0
		.amdhsa_exception_fp_ieee_div_zero 0
		.amdhsa_exception_fp_ieee_overflow 0
		.amdhsa_exception_fp_ieee_underflow 0
		.amdhsa_exception_fp_ieee_inexact 0
		.amdhsa_exception_int_div_zero 0
	.end_amdhsa_kernel
	.text
.Lfunc_end0:
	.size	fft_rtc_back_len306_factors_17_2_9_wgs_238_tpt_34_halfLds_sp_ip_CI_unitstride_sbrr_R2C_dirReg, .Lfunc_end0-fft_rtc_back_len306_factors_17_2_9_wgs_238_tpt_34_halfLds_sp_ip_CI_unitstride_sbrr_R2C_dirReg
                                        ; -- End function
	.section	.AMDGPU.csdata,"",@progbits
; Kernel info:
; codeLenInByte = 9352
; NumSgprs: 26
; NumVgprs: 159
; ScratchSize: 0
; MemoryBound: 0
; FloatMode: 240
; IeeeMode: 1
; LDSByteSize: 0 bytes/workgroup (compile time only)
; SGPRBlocks: 3
; VGPRBlocks: 39
; NumSGPRsForWavesPerEU: 26
; NumVGPRsForWavesPerEU: 159
; Occupancy: 1
; WaveLimiterHint : 1
; COMPUTE_PGM_RSRC2:SCRATCH_EN: 0
; COMPUTE_PGM_RSRC2:USER_SGPR: 6
; COMPUTE_PGM_RSRC2:TRAP_HANDLER: 0
; COMPUTE_PGM_RSRC2:TGID_X_EN: 1
; COMPUTE_PGM_RSRC2:TGID_Y_EN: 0
; COMPUTE_PGM_RSRC2:TGID_Z_EN: 0
; COMPUTE_PGM_RSRC2:TIDIG_COMP_CNT: 0
	.type	__hip_cuid_8b197f95e3ee8372,@object ; @__hip_cuid_8b197f95e3ee8372
	.section	.bss,"aw",@nobits
	.globl	__hip_cuid_8b197f95e3ee8372
__hip_cuid_8b197f95e3ee8372:
	.byte	0                               ; 0x0
	.size	__hip_cuid_8b197f95e3ee8372, 1

	.ident	"AMD clang version 19.0.0git (https://github.com/RadeonOpenCompute/llvm-project roc-6.4.0 25133 c7fe45cf4b819c5991fe208aaa96edf142730f1d)"
	.section	".note.GNU-stack","",@progbits
	.addrsig
	.addrsig_sym __hip_cuid_8b197f95e3ee8372
	.amdgpu_metadata
---
amdhsa.kernels:
  - .args:
      - .actual_access:  read_only
        .address_space:  global
        .offset:         0
        .size:           8
        .value_kind:     global_buffer
      - .offset:         8
        .size:           8
        .value_kind:     by_value
      - .actual_access:  read_only
        .address_space:  global
        .offset:         16
        .size:           8
        .value_kind:     global_buffer
      - .actual_access:  read_only
        .address_space:  global
        .offset:         24
        .size:           8
        .value_kind:     global_buffer
      - .offset:         32
        .size:           8
        .value_kind:     by_value
      - .actual_access:  read_only
        .address_space:  global
        .offset:         40
        .size:           8
        .value_kind:     global_buffer
      - .actual_access:  read_only
        .address_space:  global
        .offset:         48
        .size:           8
        .value_kind:     global_buffer
      - .offset:         56
        .size:           4
        .value_kind:     by_value
      - .actual_access:  read_only
        .address_space:  global
        .offset:         64
        .size:           8
        .value_kind:     global_buffer
      - .actual_access:  read_only
        .address_space:  global
        .offset:         72
        .size:           8
        .value_kind:     global_buffer
      - .address_space:  global
        .offset:         80
        .size:           8
        .value_kind:     global_buffer
    .group_segment_fixed_size: 0
    .kernarg_segment_align: 8
    .kernarg_segment_size: 88
    .language:       OpenCL C
    .language_version:
      - 2
      - 0
    .max_flat_workgroup_size: 238
    .name:           fft_rtc_back_len306_factors_17_2_9_wgs_238_tpt_34_halfLds_sp_ip_CI_unitstride_sbrr_R2C_dirReg
    .private_segment_fixed_size: 0
    .sgpr_count:     26
    .sgpr_spill_count: 0
    .symbol:         fft_rtc_back_len306_factors_17_2_9_wgs_238_tpt_34_halfLds_sp_ip_CI_unitstride_sbrr_R2C_dirReg.kd
    .uniform_work_group_size: 1
    .uses_dynamic_stack: false
    .vgpr_count:     159
    .vgpr_spill_count: 0
    .wavefront_size: 64
amdhsa.target:   amdgcn-amd-amdhsa--gfx906
amdhsa.version:
  - 1
  - 2
...

	.end_amdgpu_metadata
